;; amdgpu-corpus repo=ROCm/rocFFT kind=compiled arch=gfx1030 opt=O3
	.text
	.amdgcn_target "amdgcn-amd-amdhsa--gfx1030"
	.amdhsa_code_object_version 6
	.protected	bluestein_single_back_len616_dim1_sp_op_CI_CI ; -- Begin function bluestein_single_back_len616_dim1_sp_op_CI_CI
	.globl	bluestein_single_back_len616_dim1_sp_op_CI_CI
	.p2align	8
	.type	bluestein_single_back_len616_dim1_sp_op_CI_CI,@function
bluestein_single_back_len616_dim1_sp_op_CI_CI: ; @bluestein_single_back_len616_dim1_sp_op_CI_CI
; %bb.0:
	s_load_dwordx4 s[0:3], s[4:5], 0x28
	v_mul_u32_u24_e32 v1, 0x2e9, v0
	v_mov_b32_e32 v47, 0
	v_lshrrev_b32_e32 v1, 16, v1
	v_add_nc_u32_e32 v46, s6, v1
	s_waitcnt lgkmcnt(0)
	v_cmp_gt_u64_e32 vcc_lo, s[0:1], v[46:47]
	s_and_saveexec_b32 s0, vcc_lo
	s_cbranch_execz .LBB0_23
; %bb.1:
	v_mul_lo_u16 v1, 0x58, v1
	s_clause 0x1
	s_load_dwordx2 s[14:15], s[4:5], 0x0
	s_load_dwordx2 s[12:13], s[4:5], 0x38
	v_sub_nc_u16 v0, v0, v1
	v_and_b32_e32 v53, 0xffff, v0
	v_cmp_gt_u16_e32 vcc_lo, 56, v0
	v_lshlrev_b32_e32 v51, 3, v53
	v_or_b32_e32 v52, 0x1c0, v53
	s_and_saveexec_b32 s1, vcc_lo
	s_cbranch_execz .LBB0_3
; %bb.2:
	s_load_dwordx2 s[6:7], s[4:5], 0x18
	v_lshlrev_b32_e32 v15, 3, v52
	v_add_nc_u32_e32 v54, 0x800, v51
	s_waitcnt lgkmcnt(0)
	s_load_dwordx4 s[8:11], s[6:7], 0x0
	s_waitcnt lgkmcnt(0)
	v_mad_u64_u32 v[0:1], null, s10, v46, 0
	v_mad_u64_u32 v[2:3], null, s8, v53, 0
	s_mul_i32 s6, s9, 0x1c0
	s_mul_hi_u32 s7, s8, 0x1c0
	s_mul_i32 s10, s8, 0x1c0
	s_add_i32 s7, s7, s6
	v_mad_u64_u32 v[4:5], null, s11, v46, v[1:2]
	v_mad_u64_u32 v[5:6], null, s9, v53, v[3:4]
	v_mov_b32_e32 v1, v4
	s_clause 0x2
	global_load_dwordx2 v[6:7], v51, s[14:15]
	global_load_dwordx2 v[8:9], v51, s[14:15] offset:448
	global_load_dwordx2 v[15:16], v15, s[14:15]
	v_lshlrev_b64 v[0:1], 3, v[0:1]
	v_mov_b32_e32 v3, v5
	v_add_co_u32 v23, s0, s2, v0
	v_lshlrev_b64 v[2:3], 3, v[2:3]
	v_add_co_ci_u32_e64 v24, s0, s3, v1, s0
	v_mad_u64_u32 v[0:1], null, s8, v52, 0
	v_add_co_u32 v2, s0, v23, v2
	v_add_co_ci_u32_e64 v3, s0, v24, v3, s0
	v_add_co_u32 v4, s0, v2, s10
	v_add_co_ci_u32_e64 v5, s0, s7, v3, s0
	v_mad_u64_u32 v[12:13], null, s9, v52, v[1:2]
	v_add_co_u32 v10, s0, v4, s10
	v_add_co_ci_u32_e64 v11, s0, s7, v5, s0
	v_add_co_u32 v13, s0, v10, s10
	v_add_co_ci_u32_e64 v14, s0, s7, v11, s0
	v_mov_b32_e32 v1, v12
	v_add_co_u32 v17, s0, v13, s10
	v_add_co_ci_u32_e64 v18, s0, s7, v14, s0
	v_lshlrev_b64 v[0:1], 3, v[0:1]
	v_add_co_u32 v19, s0, v17, s10
	v_add_co_ci_u32_e64 v20, s0, s7, v18, s0
	v_add_co_u32 v21, s0, v19, s10
	v_add_co_ci_u32_e64 v22, s0, s7, v20, s0
	;; [unrolled: 2-line block ×3, first 2 shown]
	s_clause 0x2
	global_load_dwordx2 v[0:1], v[0:1], off
	global_load_dwordx2 v[2:3], v[2:3], off
	global_load_dwordx2 v[4:5], v[4:5], off
	s_clause 0x2
	global_load_dwordx2 v[27:28], v51, s[14:15] offset:896
	global_load_dwordx2 v[29:30], v51, s[14:15] offset:1344
	;; [unrolled: 1-line block ×3, first 2 shown]
	s_clause 0x2
	global_load_dwordx2 v[10:11], v[10:11], off
	global_load_dwordx2 v[13:14], v[13:14], off
	global_load_dwordx2 v[17:18], v[17:18], off
	v_add_co_u32 v23, s0, v21, s10
	v_add_co_ci_u32_e64 v24, s0, s7, v22, s0
	v_add_co_u32 v37, s0, s14, v51
	v_add_co_ci_u32_e64 v38, null, s15, 0, s0
	v_mad_u64_u32 v[25:26], null, 0x380, s8, v[23:24]
	v_add_co_u32 v33, s0, 0x800, v37
	v_add_co_ci_u32_e64 v34, s0, 0, v38, s0
	v_mov_b32_e32 v12, v26
	s_waitcnt vmcnt(7)
	v_mul_f32_e32 v47, v3, v7
	s_waitcnt vmcnt(6)
	v_mul_f32_e32 v49, v5, v9
	s_waitcnt vmcnt(1)
	v_mad_u64_u32 v[35:36], null, 0x380, s9, v[12:13]
	v_add_co_u32 v36, s0, 0x1000, v37
	v_add_co_ci_u32_e64 v37, s0, 0, v38, s0
	global_load_dwordx2 v[19:20], v[19:20], off
	s_clause 0x2
	global_load_dwordx2 v[38:39], v[33:34], off offset:192
	global_load_dwordx2 v[40:41], v[33:34], off offset:640
	;; [unrolled: 1-line block ×3, first 2 shown]
	global_load_dwordx2 v[21:22], v[21:22], off
	v_add_co_u32 v44, s0, v25, s10
	v_mov_b32_e32 v26, v35
	global_load_dwordx2 v[23:24], v[23:24], off
	v_mul_f32_e32 v12, v2, v7
	v_mul_f32_e32 v7, v1, v16
	;; [unrolled: 1-line block ×3, first 2 shown]
	v_add_co_ci_u32_e64 v45, s0, s7, v26, s0
	global_load_dwordx2 v[33:34], v[33:34], off offset:1984
	global_load_dwordx2 v[25:26], v[25:26], off
	global_load_dwordx2 v[35:36], v[36:37], off offset:384
	global_load_dwordx2 v[44:45], v[44:45], off
	v_mul_f32_e32 v16, v0, v16
	v_fmac_f32_e32 v47, v2, v6
	v_fma_f32 v48, v3, v6, -v12
	v_fmac_f32_e32 v49, v4, v8
	v_fma_f32 v50, v5, v8, -v9
	v_fma_f32 v8, v1, v15, -v16
	v_mul_f32_e32 v1, v10, v28
	v_mul_f32_e32 v5, v13, v30
	s_waitcnt vmcnt(10)
	v_mul_f32_e32 v6, v17, v32
	v_mul_f32_e32 v2, v11, v28
	v_fmac_f32_e32 v7, v0, v15
	v_mul_f32_e32 v0, v14, v30
	v_fma_f32 v3, v11, v27, -v1
	v_fma_f32 v1, v14, v29, -v5
	;; [unrolled: 1-line block ×3, first 2 shown]
	v_mul_f32_e32 v4, v18, v32
	v_fmac_f32_e32 v2, v10, v27
	v_fmac_f32_e32 v0, v13, v29
	v_add_nc_u32_e32 v37, 0x400, v51
	ds_write2_b64 v51, v[47:48], v[49:50] offset1:56
	v_fmac_f32_e32 v4, v17, v31
	s_waitcnt vmcnt(8)
	v_mul_f32_e32 v6, v19, v39
	v_mul_f32_e32 v9, v20, v39
	s_waitcnt vmcnt(5)
	v_mul_f32_e32 v11, v22, v41
	v_mul_f32_e32 v12, v21, v41
	v_fma_f32 v10, v20, v38, -v6
	v_fmac_f32_e32 v9, v19, v38
	s_waitcnt vmcnt(4)
	v_mul_f32_e32 v13, v24, v43
	v_mul_f32_e32 v6, v23, v43
	v_fmac_f32_e32 v11, v21, v40
	v_fma_f32 v12, v22, v40, -v12
	s_waitcnt vmcnt(2)
	v_mul_f32_e32 v15, v26, v34
	v_mul_f32_e32 v16, v25, v34
	s_waitcnt vmcnt(0)
	v_mul_f32_e32 v17, v45, v36
	v_mul_f32_e32 v18, v44, v36
	v_fmac_f32_e32 v13, v23, v42
	v_fma_f32 v14, v24, v42, -v6
	v_fmac_f32_e32 v15, v25, v33
	v_fma_f32 v16, v26, v33, -v16
	;; [unrolled: 2-line block ×3, first 2 shown]
	ds_write2_b64 v51, v[2:3], v[0:1] offset0:112 offset1:168
	ds_write2_b64 v37, v[4:5], v[9:10] offset0:96 offset1:152
	ds_write2_b64 v54, v[11:12], v[13:14] offset0:80 offset1:136
	ds_write2_b64 v54, v[7:8], v[15:16] offset0:192 offset1:248
	ds_write_b64 v51, v[17:18] offset:4480
.LBB0_3:
	s_or_b32 exec_lo, exec_lo, s1
	s_clause 0x1
	s_load_dwordx2 s[0:1], s[4:5], 0x20
	s_load_dwordx2 s[2:3], s[4:5], 0x8
	v_mov_b32_e32 v12, 0
	v_mov_b32_e32 v13, 0
	s_waitcnt lgkmcnt(0)
	s_barrier
	buffer_gl0_inv
                                        ; implicit-def: $vgpr10
                                        ; implicit-def: $vgpr4
                                        ; implicit-def: $vgpr24
                                        ; implicit-def: $vgpr18
                                        ; implicit-def: $vgpr22
	s_and_saveexec_b32 s4, vcc_lo
	s_cbranch_execz .LBB0_5
; %bb.4:
	v_add_nc_u32_e32 v0, 0x400, v51
	v_add_nc_u32_e32 v1, 0x800, v51
	ds_read2_b64 v[12:15], v51 offset1:56
	ds_read2_b64 v[20:23], v51 offset0:112 offset1:168
	ds_read2_b64 v[16:19], v0 offset0:96 offset1:152
	;; [unrolled: 1-line block ×4, first 2 shown]
	ds_read_b64 v[24:25], v51 offset:4480
.LBB0_5:
	s_or_b32 exec_lo, exec_lo, s4
	s_waitcnt lgkmcnt(0)
	v_sub_f32_e32 v58, v15, v25
	v_add_f32_e32 v39, v24, v14
	v_sub_f32_e32 v68, v21, v7
	v_sub_f32_e32 v44, v14, v24
	v_add_f32_e32 v42, v6, v20
	v_mul_f32_e32 v26, 0xbf0a6770, v58
	v_sub_f32_e32 v71, v23, v5
	v_mul_f32_e32 v28, 0xbf68dda4, v68
	v_add_f32_e32 v64, v25, v15
	v_mul_f32_e32 v27, 0xbf0a6770, v44
	v_fmamk_f32 v0, v39, 0x3f575c64, v26
	v_sub_f32_e32 v61, v20, v6
	v_fmamk_f32 v2, v42, 0x3ed4b147, v28
	v_add_f32_e32 v50, v4, v22
	v_mul_f32_e32 v32, 0xbf7d64f0, v71
	v_add_f32_e32 v0, v0, v12
	v_sub_f32_e32 v79, v17, v11
	v_fma_f32 v1, 0x3f575c64, v64, -v27
	v_add_f32_e32 v49, v7, v21
	v_mul_f32_e32 v29, 0xbf68dda4, v61
	v_sub_f32_e32 v70, v22, v4
	v_add_f32_e32 v0, v2, v0
	v_fmamk_f32 v2, v50, 0xbe11bafb, v32
	v_add_f32_e32 v62, v10, v16
	v_mul_f32_e32 v34, 0xbf4178ce, v79
	v_sub_f32_e32 v69, v19, v9
	v_add_f32_e32 v1, v1, v13
	v_mul_f32_e32 v36, 0xbf68dda4, v58
	v_fma_f32 v3, 0x3ed4b147, v49, -v29
	v_add_f32_e32 v55, v5, v23
	v_mul_f32_e32 v33, 0xbf7d64f0, v70
	v_sub_f32_e32 v78, v16, v10
	v_add_f32_e32 v0, v2, v0
	v_fmamk_f32 v2, v62, 0xbf27a4f4, v34
	v_add_f32_e32 v66, v8, v18
	v_mul_f32_e32 v37, 0xbe903f40, v69
	v_mul_f32_e32 v57, 0xbf68dda4, v44
	v_add_f32_e32 v1, v3, v1
	v_fma_f32 v3, 0xbe11bafb, v55, -v33
	v_add_f32_e32 v63, v11, v17
	v_mul_f32_e32 v35, 0xbf4178ce, v78
	v_sub_f32_e32 v74, v18, v8
	v_fmamk_f32 v30, v39, 0x3ed4b147, v36
	v_add_f32_e32 v0, v2, v0
	v_fmamk_f32 v2, v66, 0xbf75a155, v37
	v_mul_f32_e32 v43, 0xbf4178ce, v68
	v_fma_f32 v31, 0x3ed4b147, v64, -v57
	v_mul_f32_e32 v59, 0xbf4178ce, v61
	v_add_f32_e32 v1, v3, v1
	v_fma_f32 v3, 0xbf27a4f4, v63, -v35
	v_add_f32_e32 v67, v9, v19
	v_mul_f32_e32 v38, 0xbe903f40, v74
	v_add_f32_e32 v30, v30, v12
	v_add_f32_e32 v47, v2, v0
	v_fmamk_f32 v0, v42, 0xbf27a4f4, v43
	v_mul_f32_e32 v45, 0x3e903f40, v71
	v_add_f32_e32 v2, v31, v13
	v_fma_f32 v31, 0xbf27a4f4, v49, -v59
	v_mul_f32_e32 v56, 0x3e903f40, v70
	v_add_f32_e32 v1, v3, v1
	v_fma_f32 v3, 0xbf75a155, v67, -v38
	v_add_f32_e32 v0, v0, v30
	v_fmamk_f32 v30, v50, 0xbf75a155, v45
	v_mul_f32_e32 v40, 0x3f7d64f0, v79
	v_add_f32_e32 v2, v31, v2
	v_fma_f32 v31, 0xbf75a155, v55, -v56
	v_mul_f32_e32 v60, 0x3f7d64f0, v78
	v_add_f32_e32 v0, v30, v0
	v_fmamk_f32 v30, v62, 0xbe11bafb, v40
	v_add_f32_e32 v48, v3, v1
	v_add_f32_e32 v1, v31, v2
	v_fma_f32 v2, 0xbe11bafb, v63, -v60
	v_mul_f32_e32 v76, 0xbf7d64f0, v58
	v_mul_f32_e32 v41, 0x3f0a6770, v69
	v_add_f32_e32 v0, v30, v0
	v_mul_f32_e32 v72, 0x3e903f40, v68
	v_add_f32_e32 v1, v2, v1
	v_fmamk_f32 v2, v39, 0xbe11bafb, v76
	v_fmamk_f32 v3, v66, 0x3f575c64, v41
	v_mul_f32_e32 v82, 0xbf7d64f0, v44
	v_fmamk_f32 v54, v42, 0xbf75a155, v72
	v_mul_f32_e32 v77, 0x3f68dda4, v71
	v_add_f32_e32 v31, v2, v12
	v_add_f32_e32 v2, v3, v0
	v_fma_f32 v0, 0xbe11bafb, v64, -v82
	v_mul_f32_e32 v83, 0x3e903f40, v61
	v_mul_f32_e32 v73, 0xbf0a6770, v79
	v_add_f32_e32 v3, v54, v31
	v_fmamk_f32 v31, v50, 0x3ed4b147, v77
	v_add_f32_e32 v0, v0, v13
	v_fma_f32 v54, 0xbf75a155, v49, -v83
	v_mul_f32_e32 v81, 0x3f68dda4, v70
	v_mul_f32_e32 v86, 0xbf4178ce, v58
	v_add_f32_e32 v3, v31, v3
	v_fmamk_f32 v31, v62, 0x3f575c64, v73
	;; [unrolled: 6-line block ×4, first 2 shown]
	v_add_f32_e32 v54, v54, v13
	v_fma_f32 v90, 0xbe11bafb, v49, -v92
	v_mul_f32_e32 v89, 0xbf0a6770, v71
	v_mul_f32_e32 v93, 0xbf0a6770, v70
	v_fma_f32 v85, 0x3f575c64, v63, -v80
	v_add_f32_e32 v3, v87, v3
	v_add_f32_e32 v54, v90, v54
	v_fmamk_f32 v90, v50, 0x3f575c64, v89
	v_fma_f32 v96, 0x3f575c64, v55, -v93
	v_mul_f32_e32 v87, 0xbe903f40, v79
	v_mul_f32_e32 v94, 0xbe903f40, v78
	;; [unrolled: 1-line block ×5, first 2 shown]
	v_add_f32_e32 v97, v85, v0
	v_add_f32_e32 v0, v90, v3
	v_add_f32_e32 v3, v96, v54
	v_fmamk_f32 v54, v62, 0xbf75a155, v87
	v_fma_f32 v96, 0xbf75a155, v63, -v94
	v_mul_f32_e32 v85, 0x3f68dda4, v69
	v_mul_f32_e32 v90, 0x3f68dda4, v74
	v_fma_f32 v30, 0x3f575c64, v67, -v65
	v_fmamk_f32 v95, v66, 0xbf27a4f4, v75
	v_fma_f32 v98, 0xbf27a4f4, v67, -v84
	v_add_f32_e32 v54, v54, v0
	v_add_f32_e32 v96, v96, v3
	v_fmamk_f32 v99, v66, 0x3ed4b147, v85
	v_fma_f32 v100, 0x3ed4b147, v67, -v90
	v_add_f32_e32 v3, v30, v1
	v_add_f32_e32 v0, v95, v31
	;; [unrolled: 1-line block ×5, first 2 shown]
	v_mul_lo_u16 v54, v53, 11
	s_barrier
	buffer_gl0_inv
	s_and_saveexec_b32 s4, vcc_lo
	s_cbranch_execz .LBB0_7
; %bb.6:
	v_mul_f32_e32 v95, 0xbf75a155, v64
	v_mul_f32_e32 v101, 0x3f575c64, v49
	v_mul_f32_e32 v106, 0xbf27a4f4, v55
	v_mul_f32_e32 v58, 0xbe903f40, v58
	v_mul_f32_e32 v68, 0x3f0a6770, v68
	v_fmamk_f32 v100, v44, 0x3e903f40, v95
	v_fmamk_f32 v105, v61, 0xbf0a6770, v101
	v_fmac_f32_e32 v95, 0xbe903f40, v44
	v_fmamk_f32 v109, v39, 0xbf75a155, v58
	v_fmac_f32_e32 v101, 0x3f0a6770, v61
	v_add_f32_e32 v100, v100, v13
	v_mul_f32_e32 v96, 0x3f575c64, v39
	v_add_f32_e32 v95, v95, v13
	v_mul_f32_e32 v97, 0x3f575c64, v64
	v_mul_f32_e32 v98, 0x3ed4b147, v39
	v_add_f32_e32 v100, v105, v100
	v_fmamk_f32 v105, v70, 0x3f4178ce, v106
	v_mul_f32_e32 v99, 0x3ed4b147, v64
	v_mul_f32_e32 v102, 0xbe11bafb, v39
	;; [unrolled: 1-line block ×4, first 2 shown]
	v_add_f32_e32 v44, v105, v100
	v_mul_f32_e32 v100, 0x3ed4b147, v63
	v_add_f32_e32 v105, v109, v12
	v_fmamk_f32 v109, v42, 0x3f575c64, v68
	v_mul_f32_e32 v64, 0xbf27a4f4, v64
	v_add_f32_e32 v95, v101, v95
	v_fmac_f32_e32 v106, 0xbf4178ce, v70
	v_fma_f32 v39, 0xbf75a155, v39, -v58
	v_add_f32_e32 v105, v109, v105
	v_fmamk_f32 v109, v78, 0xbf68dda4, v100
	v_mul_f32_e32 v107, 0x3ed4b147, v42
	v_mul_f32_e32 v108, 0x3ed4b147, v49
	;; [unrolled: 1-line block ×5, first 2 shown]
	v_add_f32_e32 v44, v109, v44
	v_mul_f32_e32 v109, 0xbf75a155, v42
	v_add_f32_e32 v95, v106, v95
	v_mul_f32_e32 v106, 0xbf75a155, v49
	v_fmac_f32_e32 v100, 0x3f68dda4, v78
	v_mul_f32_e32 v78, 0xbe11bafb, v42
	v_mul_f32_e32 v49, 0xbe11bafb, v49
	v_fma_f32 v42, 0x3f575c64, v42, -v68
	v_add_f32_e32 v64, v91, v64
	v_add_f32_e32 v39, v39, v12
	v_fmamk_f32 v101, v50, 0xbf27a4f4, v61
	v_mul_f32_e32 v79, 0x3f68dda4, v79
	v_add_f32_e32 v95, v100, v95
	v_mul_f32_e32 v100, 0xbe11bafb, v55
	v_mul_f32_e32 v68, 0xbf75a155, v55
	v_add_f32_e32 v49, v92, v49
	v_mul_f32_e32 v92, 0x3ed4b147, v55
	v_mul_f32_e32 v55, 0x3f575c64, v55
	v_add_f32_e32 v64, v64, v13
	v_add_f32_e32 v39, v42, v39
	v_mul_f32_e32 v42, 0xbe11bafb, v67
	v_add_f32_e32 v101, v101, v105
	v_fmamk_f32 v105, v62, 0x3ed4b147, v79
	v_fma_f32 v61, 0xbf27a4f4, v50, -v61
	v_add_f32_e32 v49, v49, v64
	v_add_f32_e32 v55, v93, v55
	v_fmamk_f32 v93, v74, 0x3f7d64f0, v42
	v_fmac_f32_e32 v42, 0xbf7d64f0, v74
	v_mul_f32_e32 v74, 0xbf75a155, v63
	v_sub_f32_e32 v86, v104, v86
	v_add_f32_e32 v15, v15, v13
	v_add_f32_e32 v14, v14, v12
	;; [unrolled: 1-line block ×3, first 2 shown]
	v_mul_f32_e32 v105, 0xbe11bafb, v50
	v_mul_f32_e32 v58, 0xbf75a155, v50
	;; [unrolled: 1-line block ×4, first 2 shown]
	v_add_f32_e32 v39, v61, v39
	v_add_f32_e32 v49, v55, v49
	;; [unrolled: 1-line block ×3, first 2 shown]
	v_fma_f32 v79, 0x3ed4b147, v62, -v79
	v_sub_f32_e32 v78, v78, v88
	v_add_f32_e32 v86, v86, v12
	v_add_f32_e32 v15, v21, v15
	;; [unrolled: 1-line block ×3, first 2 shown]
	v_mul_f32_e32 v64, 0xbf27a4f4, v62
	v_mul_f32_e32 v55, 0xbe11bafb, v62
	;; [unrolled: 1-line block ×4, first 2 shown]
	v_add_f32_e32 v79, v79, v39
	v_mul_f32_e32 v110, 0xbf75a155, v67
	v_add_f32_e32 v74, v74, v49
	v_add_f32_e32 v49, v78, v86
	v_mul_f32_e32 v78, 0x3f575c64, v67
	v_sub_f32_e32 v86, v50, v89
	v_mul_f32_e32 v39, 0xbf7d64f0, v69
	v_add_f32_e32 v50, v82, v103
	v_mul_f32_e32 v69, 0xbf27a4f4, v67
	v_mul_f32_e32 v67, 0x3ed4b147, v67
	v_add_f32_e32 v15, v23, v15
	v_add_f32_e32 v20, v22, v20
	;; [unrolled: 1-line block ×3, first 2 shown]
	v_fmamk_f32 v83, v66, 0xbe11bafb, v39
	v_fma_f32 v103, 0xbe11bafb, v66, -v39
	v_add_f32_e32 v39, v93, v44
	v_add_f32_e32 v44, v50, v13
	v_add_f32_e32 v50, v42, v95
	v_add_f32_e32 v42, v90, v67
	v_add_f32_e32 v67, v86, v49
	v_sub_f32_e32 v62, v62, v87
	v_add_f32_e32 v15, v17, v15
	v_add_f32_e32 v16, v16, v20
	;; [unrolled: 1-line block ×3, first 2 shown]
	v_sub_f32_e32 v36, v98, v36
	v_add_f32_e32 v62, v62, v67
	v_sub_f32_e32 v67, v102, v76
	v_add_f32_e32 v27, v27, v97
	;; [unrolled: 2-line block ×3, first 2 shown]
	v_add_f32_e32 v16, v18, v16
	v_mul_f32_e32 v61, 0xbf27a4f4, v63
	v_mul_f32_e32 v94, 0xbe11bafb, v63
	;; [unrolled: 1-line block ×3, first 2 shown]
	v_add_f32_e32 v44, v82, v44
	v_add_f32_e32 v81, v81, v92
	;; [unrolled: 1-line block ×8, first 2 shown]
	v_sub_f32_e32 v20, v107, v28
	v_add_f32_e32 v9, v9, v15
	v_add_f32_e32 v8, v8, v16
	;; [unrolled: 1-line block ×4, first 2 shown]
	v_sub_f32_e32 v72, v109, v72
	v_add_f32_e32 v59, v59, v70
	v_sub_f32_e32 v43, v71, v43
	v_add_f32_e32 v13, v17, v13
	v_add_f32_e32 v17, v33, v100
	;; [unrolled: 1-line block ×3, first 2 shown]
	v_sub_f32_e32 v15, v105, v32
	v_add_f32_e32 v9, v11, v9
	v_add_f32_e32 v8, v10, v8
	;; [unrolled: 1-line block ×5, first 2 shown]
	v_sub_f32_e32 v69, v91, v77
	v_add_f32_e32 v57, v59, v57
	v_add_f32_e32 v56, v56, v68
	;; [unrolled: 1-line block ×3, first 2 shown]
	v_sub_f32_e32 v43, v58, v45
	v_mul_f32_e32 v88, 0xbf75a155, v66
	v_add_f32_e32 v13, v17, v13
	v_add_f32_e32 v16, v35, v61
	;; [unrolled: 1-line block ×3, first 2 shown]
	v_sub_f32_e32 v11, v64, v34
	v_add_f32_e32 v5, v5, v9
	v_add_f32_e32 v4, v4, v8
	v_mul_f32_e32 v111, 0x3f575c64, v66
	v_mul_f32_e32 v89, 0xbf27a4f4, v66
	v_add_f32_e32 v44, v63, v44
	v_add_f32_e32 v59, v69, v67
	v_sub_f32_e32 v63, v104, v73
	v_add_f32_e32 v56, v56, v57
	v_add_f32_e32 v57, v60, v94
	;; [unrolled: 1-line block ×3, first 2 shown]
	v_sub_f32_e32 v40, v55, v40
	v_mul_f32_e32 v66, 0x3ed4b147, v66
	v_add_f32_e32 v12, v16, v13
	v_add_f32_e32 v8, v38, v110
	;; [unrolled: 1-line block ×3, first 2 shown]
	v_sub_f32_e32 v10, v88, v37
	v_add_f32_e32 v7, v7, v5
	v_add_f32_e32 v6, v6, v4
	v_mov_b32_e32 v11, 3
	v_add_f32_e32 v59, v63, v59
	v_sub_f32_e32 v60, v89, v75
	v_add_f32_e32 v45, v57, v56
	v_add_f32_e32 v56, v65, v78
	;; [unrolled: 1-line block ×3, first 2 shown]
	v_sub_f32_e32 v22, v111, v41
	v_sub_f32_e32 v66, v66, v85
	v_add_f32_e32 v5, v8, v12
	v_add_f32_e32 v4, v10, v9
	;; [unrolled: 1-line block ×4, first 2 shown]
	v_lshlrev_b32_sdwa v8, v11, v54 dst_sel:DWORD dst_unused:UNUSED_PAD src0_sel:DWORD src1_sel:WORD_0
	v_add_f32_e32 v43, v60, v59
	v_add_f32_e32 v14, v56, v45
	;; [unrolled: 1-line block ×7, first 2 shown]
	ds_write2_b64 v8, v[6:7], v[4:5] offset1:1
	ds_write2_b64 v8, v[13:14], v[43:44] offset0:2 offset1:3
	ds_write2_b64 v8, v[41:42], v[49:50] offset0:4 offset1:5
	;; [unrolled: 1-line block ×4, first 2 shown]
	ds_write_b64 v8, v[47:48] offset:80
.LBB0_7:
	s_or_b32 exec_lo, exec_lo, s4
	v_and_b32_e32 v4, 0xff, v53
	s_load_dwordx4 s[4:7], s[0:1], 0x0
	s_waitcnt lgkmcnt(0)
	s_barrier
	buffer_gl0_inv
	v_mul_lo_u16 v4, 0x75, v4
	v_add_nc_u32_e32 v21, 0x400, v51
	v_add_nc_u32_e32 v16, 0x800, v51
	v_mov_b32_e32 v35, 0x4d
	v_cmp_gt_u16_e64 s0, 0x4d, v53
	v_lshrrev_b16 v4, 8, v4
	v_sub_nc_u16 v5, v53, v4
	v_lshrrev_b16 v5, 1, v5
	v_and_b32_e32 v5, 0x7f, v5
	v_add_nc_u16 v4, v5, v4
	v_lshrrev_b16 v29, 3, v4
	v_mul_lo_u16 v4, v29, 11
	v_mul_u32_u24_sdwa v29, v29, v35 dst_sel:DWORD dst_unused:UNUSED_PAD src0_sel:WORD_0 src1_sel:DWORD
	v_sub_nc_u16 v4, v53, v4
	v_and_b32_e32 v34, 0xff, v4
	v_mul_u32_u24_e32 v4, 6, v34
	v_add_lshl_u32 v55, v29, v34, 3
	v_lshlrev_b32_e32 v4, 3, v4
	s_clause 0x2
	global_load_dwordx4 v[12:15], v4, s[2:3]
	global_load_dwordx4 v[8:11], v4, s[2:3] offset:16
	global_load_dwordx4 v[4:7], v4, s[2:3] offset:32
	ds_read2_b64 v[17:20], v51 offset1:88
	ds_read2_b64 v[21:24], v21 offset0:48 offset1:136
	ds_read2_b64 v[25:28], v16 offset0:96 offset1:184
	ds_read_b64 v[32:33], v51 offset:4224
	s_waitcnt vmcnt(0) lgkmcnt(0)
	s_barrier
	buffer_gl0_inv
	v_mul_f32_e32 v29, v20, v13
	v_mul_f32_e32 v34, v19, v13
	;; [unrolled: 1-line block ×12, first 2 shown]
	v_fma_f32 v19, v19, v12, -v29
	v_fmac_f32_e32 v34, v20, v12
	v_fma_f32 v20, v21, v14, -v35
	v_fmac_f32_e32 v36, v22, v14
	;; [unrolled: 2-line block ×6, first 2 shown]
	v_add_f32_e32 v25, v19, v23
	v_add_f32_e32 v26, v34, v44
	v_add_f32_e32 v27, v20, v24
	v_add_f32_e32 v28, v36, v42
	v_sub_f32_e32 v19, v19, v23
	v_sub_f32_e32 v23, v34, v44
	;; [unrolled: 1-line block ×4, first 2 shown]
	v_add_f32_e32 v29, v21, v22
	v_add_f32_e32 v32, v38, v40
	v_sub_f32_e32 v21, v22, v21
	v_sub_f32_e32 v22, v40, v38
	v_add_f32_e32 v33, v27, v25
	v_add_f32_e32 v34, v28, v26
	v_sub_f32_e32 v35, v27, v25
	v_sub_f32_e32 v36, v28, v26
	;; [unrolled: 1-line block ×6, first 2 shown]
	v_add_f32_e32 v37, v21, v20
	v_add_f32_e32 v38, v22, v24
	v_sub_f32_e32 v39, v21, v20
	v_sub_f32_e32 v40, v22, v24
	;; [unrolled: 1-line block ×4, first 2 shown]
	v_add_f32_e32 v29, v29, v33
	v_add_f32_e32 v34, v32, v34
	v_sub_f32_e32 v21, v19, v21
	v_sub_f32_e32 v22, v23, v22
	v_add_f32_e32 v19, v37, v19
	v_add_f32_e32 v23, v38, v23
	v_mul_f32_e32 v25, 0x3f4a47b2, v25
	v_mul_f32_e32 v26, 0x3f4a47b2, v26
	v_mul_f32_e32 v37, 0x3d64c772, v27
	v_mul_f32_e32 v38, 0x3d64c772, v28
	v_mul_f32_e32 v39, 0xbf08b237, v39
	v_mul_f32_e32 v40, 0xbf08b237, v40
	v_mul_f32_e32 v41, 0x3f5ff5aa, v20
	v_mul_f32_e32 v42, 0x3f5ff5aa, v24
	v_add_f32_e32 v32, v17, v29
	v_add_f32_e32 v33, v18, v34
	v_fmamk_f32 v17, v27, 0x3d64c772, v25
	v_fmamk_f32 v18, v28, 0x3d64c772, v26
	v_fma_f32 v27, 0x3f3bfb3b, v35, -v37
	v_fma_f32 v28, 0x3f3bfb3b, v36, -v38
	;; [unrolled: 1-line block ×4, first 2 shown]
	v_fmamk_f32 v44, v21, 0x3eae86e6, v39
	v_fmamk_f32 v45, v22, 0x3eae86e6, v40
	v_fma_f32 v20, 0x3f5ff5aa, v20, -v39
	v_fma_f32 v24, 0x3f5ff5aa, v24, -v40
	;; [unrolled: 1-line block ×4, first 2 shown]
	v_fmamk_f32 v29, v29, 0xbf955555, v32
	v_fmamk_f32 v34, v34, 0xbf955555, v33
	v_fmac_f32_e32 v44, 0x3ee1c552, v19
	v_fmac_f32_e32 v45, 0x3ee1c552, v23
	v_fmac_f32_e32 v20, 0x3ee1c552, v19
	v_fmac_f32_e32 v24, 0x3ee1c552, v23
	v_fmac_f32_e32 v21, 0x3ee1c552, v19
	v_fmac_f32_e32 v22, 0x3ee1c552, v23
	v_add_f32_e32 v17, v17, v29
	v_add_f32_e32 v18, v18, v34
	;; [unrolled: 1-line block ×7, first 2 shown]
	v_sub_f32_e32 v35, v18, v44
	v_add_f32_e32 v36, v22, v23
	v_sub_f32_e32 v37, v25, v21
	v_sub_f32_e32 v38, v19, v24
	v_add_f32_e32 v39, v20, v26
	v_add_f32_e32 v40, v24, v19
	v_sub_f32_e32 v41, v26, v20
	v_sub_f32_e32 v42, v23, v22
	v_add_f32_e32 v43, v21, v25
	v_sub_f32_e32 v28, v17, v45
	v_add_f32_e32 v29, v44, v18
	ds_write2_b64 v55, v[32:33], v[34:35] offset1:11
	ds_write2_b64 v55, v[36:37], v[38:39] offset0:22 offset1:33
	ds_write2_b64 v55, v[40:41], v[42:43] offset0:44 offset1:55
	ds_write_b64 v55, v[28:29] offset:528
	s_waitcnt lgkmcnt(0)
	s_barrier
	buffer_gl0_inv
	s_and_saveexec_b32 s1, s0
	s_cbranch_execz .LBB0_9
; %bb.8:
	v_add_nc_u32_e32 v17, 0xc00, v51
	ds_read2_b64 v[32:35], v51 offset1:77
	ds_read2_b64 v[36:39], v51 offset0:154 offset1:231
	ds_read2_b64 v[40:43], v16 offset0:52 offset1:129
	;; [unrolled: 1-line block ×3, first 2 shown]
.LBB0_9:
	s_or_b32 exec_lo, exec_lo, s1
	v_add_nc_u32_e32 v16, 0xffffffb3, v53
	v_cndmask_b32_e64 v16, v16, v53, s0
	v_mul_i32_i24_e32 v17, 56, v16
	v_mul_hi_i32_i24_e32 v16, 56, v16
	v_add_co_u32 v44, s1, s2, v17
	v_add_co_ci_u32_e64 v45, s1, s3, v16, s1
	s_clause 0x3
	global_load_dwordx4 v[20:23], v[44:45], off offset:528
	global_load_dwordx4 v[16:19], v[44:45], off offset:544
	;; [unrolled: 1-line block ×3, first 2 shown]
	global_load_dwordx2 v[49:50], v[44:45], off offset:576
	s_waitcnt vmcnt(3) lgkmcnt(3)
	v_mul_f32_e32 v44, v35, v21
	v_mul_f32_e32 v45, v34, v21
	s_waitcnt lgkmcnt(2)
	v_mul_f32_e32 v56, v37, v23
	v_mul_f32_e32 v57, v36, v23
	s_waitcnt vmcnt(2)
	v_mul_f32_e32 v58, v39, v17
	v_mul_f32_e32 v59, v38, v17
	s_waitcnt lgkmcnt(1)
	v_mul_f32_e32 v60, v41, v19
	v_mul_f32_e32 v61, v40, v19
	s_waitcnt vmcnt(1)
	;; [unrolled: 6-line block ×3, first 2 shown]
	v_mul_f32_e32 v66, v31, v50
	v_mul_f32_e32 v67, v30, v50
	v_fma_f32 v34, v34, v20, -v44
	v_fmac_f32_e32 v45, v35, v20
	v_fma_f32 v35, v36, v22, -v56
	v_fmac_f32_e32 v57, v37, v22
	;; [unrolled: 2-line block ×7, first 2 shown]
	v_sub_f32_e32 v30, v32, v37
	v_sub_f32_e32 v31, v33, v61
	;; [unrolled: 1-line block ×8, first 2 shown]
	v_fma_f32 v32, v32, 2.0, -v30
	v_fma_f32 v33, v33, 2.0, -v31
	;; [unrolled: 1-line block ×8, first 2 shown]
	v_sub_f32_e32 v44, v30, v37
	v_add_f32_e32 v45, v31, v28
	v_sub_f32_e32 v28, v38, v40
	v_add_f32_e32 v29, v39, v29
	v_sub_f32_e32 v56, v32, v35
	v_sub_f32_e32 v57, v33, v41
	v_fma_f32 v30, v30, 2.0, -v44
	v_fma_f32 v31, v31, 2.0, -v45
	v_sub_f32_e32 v35, v34, v36
	v_sub_f32_e32 v43, v42, v43
	v_fma_f32 v58, v38, 2.0, -v28
	v_fma_f32 v59, v39, 2.0, -v29
	v_fmamk_f32 v36, v28, 0x3f3504f3, v44
	v_fmamk_f32 v37, v29, 0x3f3504f3, v45
	v_fma_f32 v32, v32, 2.0, -v56
	v_fma_f32 v33, v33, 2.0, -v57
	;; [unrolled: 1-line block ×4, first 2 shown]
	v_fmamk_f32 v40, v58, 0xbf3504f3, v30
	v_fmamk_f32 v41, v59, 0xbf3504f3, v31
	v_sub_f32_e32 v34, v56, v43
	v_add_f32_e32 v35, v57, v35
	v_fmac_f32_e32 v36, 0xbf3504f3, v29
	v_fmac_f32_e32 v37, 0x3f3504f3, v28
	v_sub_f32_e32 v38, v32, v38
	v_sub_f32_e32 v39, v33, v39
	v_fmac_f32_e32 v40, 0xbf3504f3, v59
	v_fmac_f32_e32 v41, 0x3f3504f3, v58
	v_fma_f32 v42, v56, 2.0, -v34
	v_fma_f32 v43, v57, 2.0, -v35
	;; [unrolled: 1-line block ×8, first 2 shown]
	s_and_saveexec_b32 s1, s0
	s_cbranch_execz .LBB0_11
; %bb.10:
	v_add_nc_u32_e32 v32, 0x800, v51
	v_add_nc_u32_e32 v33, 0xc00, v51
	ds_write2_b64 v51, v[28:29], v[30:31] offset1:77
	ds_write2_b64 v51, v[42:43], v[44:45] offset0:154 offset1:231
	ds_write2_b64 v32, v[38:39], v[40:41] offset0:52 offset1:129
	;; [unrolled: 1-line block ×3, first 2 shown]
.LBB0_11:
	s_or_b32 exec_lo, exec_lo, s1
	s_waitcnt lgkmcnt(0)
	s_barrier
	buffer_gl0_inv
	s_and_saveexec_b32 s8, vcc_lo
	s_cbranch_execz .LBB0_13
; %bb.12:
	s_add_u32 s2, s14, 0x1340
	s_addc_u32 s3, s15, 0
	v_add_co_u32 v58, s1, s2, v51
	global_load_dwordx2 v[32:33], v51, s[2:3]
	v_add_co_ci_u32_e64 v59, null, s3, 0, s1
	v_add_co_u32 v56, s1, 0x800, v58
	v_or_b32_e32 v60, 0xe00, v51
	v_add_co_ci_u32_e64 v57, s1, 0, v59, s1
	v_add_co_u32 v58, s1, 0x1000, v58
	s_clause 0x2
	global_load_dwordx2 v[76:77], v51, s[2:3] offset:448
	global_load_dwordx2 v[78:79], v51, s[2:3] offset:896
	;; [unrolled: 1-line block ×3, first 2 shown]
	v_add_co_ci_u32_e64 v59, s1, 0, v59, s1
	s_clause 0x6
	global_load_dwordx2 v[82:83], v51, s[2:3] offset:1792
	global_load_dwordx2 v[84:85], v[56:57], off offset:192
	global_load_dwordx2 v[86:87], v[56:57], off offset:640
	;; [unrolled: 1-line block ×3, first 2 shown]
	global_load_dwordx2 v[90:91], v60, s[2:3]
	global_load_dwordx2 v[92:93], v[56:57], off offset:1984
	global_load_dwordx2 v[94:95], v[58:59], off offset:384
	ds_read_b64 v[56:57], v51
	v_add_nc_u32_e32 v96, 0x800, v51
	v_add_nc_u32_e32 v97, 0xc00, v51
	s_waitcnt vmcnt(10) lgkmcnt(0)
	v_mul_f32_e32 v58, v57, v33
	v_mul_f32_e32 v59, v56, v33
	v_fma_f32 v58, v56, v32, -v58
	v_fmac_f32_e32 v59, v57, v32
	ds_write_b64 v51, v[58:59]
	ds_read2_b64 v[56:59], v51 offset0:56 offset1:112
	ds_read2_b64 v[60:63], v51 offset0:168 offset1:224
	;; [unrolled: 1-line block ×5, first 2 shown]
	s_waitcnt vmcnt(7) lgkmcnt(3)
	v_mul_f32_e32 v99, v61, v81
	v_mul_f32_e32 v32, v57, v77
	;; [unrolled: 1-line block ×6, first 2 shown]
	s_waitcnt vmcnt(6)
	v_mul_f32_e32 v100, v63, v83
	v_mul_f32_e32 v81, v62, v83
	s_waitcnt vmcnt(5) lgkmcnt(2)
	v_mul_f32_e32 v101, v65, v85
	v_mul_f32_e32 v83, v64, v85
	s_waitcnt vmcnt(4)
	v_mul_f32_e32 v102, v67, v87
	v_mul_f32_e32 v85, v66, v87
	s_waitcnt vmcnt(3) lgkmcnt(1)
	v_mul_f32_e32 v103, v69, v89
	v_mul_f32_e32 v87, v68, v89
	;; [unrolled: 6-line block ×3, first 2 shown]
	s_waitcnt vmcnt(0)
	v_mul_f32_e32 v106, v75, v95
	v_mul_f32_e32 v93, v74, v95
	v_fma_f32 v32, v56, v76, -v32
	v_fmac_f32_e32 v33, v57, v76
	v_fma_f32 v76, v58, v78, -v98
	v_fmac_f32_e32 v77, v59, v78
	;; [unrolled: 2-line block ×10, first 2 shown]
	ds_write2_b64 v51, v[32:33], v[76:77] offset0:56 offset1:112
	ds_write2_b64 v51, v[78:79], v[80:81] offset0:168 offset1:224
	;; [unrolled: 1-line block ×5, first 2 shown]
.LBB0_13:
	s_or_b32 exec_lo, exec_lo, s8
	s_waitcnt lgkmcnt(0)
	s_barrier
	buffer_gl0_inv
	s_and_saveexec_b32 s1, vcc_lo
	s_cbranch_execz .LBB0_15
; %bb.14:
	v_add_nc_u32_e32 v0, 0x400, v51
	v_add_nc_u32_e32 v1, 0x800, v51
	ds_read2_b64 v[28:31], v51 offset1:56
	ds_read2_b64 v[42:45], v51 offset0:112 offset1:168
	ds_read2_b64 v[38:41], v0 offset0:96 offset1:152
	ds_read2_b64 v[34:37], v1 offset0:80 offset1:136
	ds_read2_b64 v[0:3], v1 offset0:192 offset1:248
	ds_read_b64 v[47:48], v51 offset:4480
.LBB0_15:
	s_or_b32 exec_lo, exec_lo, s1
	s_waitcnt lgkmcnt(0)
	v_sub_f32_e32 v66, v31, v48
	v_add_f32_e32 v72, v48, v31
	v_add_f32_e32 v56, v47, v30
	v_sub_f32_e32 v59, v30, v47
	v_sub_f32_e32 v67, v43, v3
	v_mul_f32_e32 v77, 0xbf4178ce, v66
	v_mul_f32_e32 v80, 0xbf27a4f4, v72
	v_add_f32_e32 v74, v3, v43
	v_add_f32_e32 v57, v2, v42
	v_mul_f32_e32 v76, 0x3f7d64f0, v67
	v_fma_f32 v32, 0xbf27a4f4, v56, -v77
	v_fmamk_f32 v33, v59, 0xbf4178ce, v80
	v_sub_f32_e32 v58, v42, v2
	v_mul_f32_e32 v82, 0xbe11bafb, v74
	v_sub_f32_e32 v68, v45, v1
	v_add_f32_e32 v32, v28, v32
	v_add_f32_e32 v33, v29, v33
	v_fma_f32 v62, 0xbe11bafb, v57, -v76
	v_add_f32_e32 v75, v1, v45
	v_fmamk_f32 v63, v58, 0x3f7d64f0, v82
	v_add_f32_e32 v60, v0, v44
	v_mul_f32_e32 v78, 0xbf0a6770, v68
	v_sub_f32_e32 v61, v44, v0
	v_mul_f32_e32 v83, 0x3f575c64, v75
	v_add_f32_e32 v32, v62, v32
	v_add_f32_e32 v33, v63, v33
	v_sub_f32_e32 v69, v39, v37
	v_fma_f32 v63, 0x3f575c64, v60, -v78
	v_add_f32_e32 v73, v37, v39
	v_fmamk_f32 v64, v61, 0xbf0a6770, v83
	v_add_f32_e32 v62, v36, v38
	v_mul_f32_e32 v79, 0xbe903f40, v69
	v_add_f32_e32 v32, v63, v32
	v_sub_f32_e32 v63, v38, v36
	v_mul_f32_e32 v85, 0xbf75a155, v73
	v_sub_f32_e32 v70, v41, v35
	v_add_f32_e32 v71, v35, v41
	v_add_f32_e32 v33, v64, v33
	v_fma_f32 v86, 0xbf75a155, v62, -v79
	v_fmamk_f32 v87, v63, 0xbe903f40, v85
	v_add_f32_e32 v64, v34, v40
	v_sub_f32_e32 v65, v40, v34
	v_mul_f32_e32 v81, 0x3f68dda4, v70
	v_mul_f32_e32 v84, 0x3ed4b147, v71
	v_add_f32_e32 v32, v86, v32
	v_add_f32_e32 v33, v87, v33
	v_fma_f32 v86, 0x3ed4b147, v64, -v81
	v_fmamk_f32 v87, v65, 0x3f68dda4, v84
	s_barrier
	buffer_gl0_inv
	v_add_f32_e32 v32, v86, v32
	v_add_f32_e32 v33, v87, v33
	s_and_saveexec_b32 s1, vcc_lo
	s_cbranch_execz .LBB0_17
; %bb.16:
	v_mul_f32_e32 v86, 0xbe903f40, v59
	v_mul_f32_e32 v87, 0x3f0a6770, v58
	;; [unrolled: 1-line block ×5, first 2 shown]
	v_fmamk_f32 v91, v72, 0xbf75a155, v86
	v_fmamk_f32 v95, v74, 0x3f575c64, v87
	v_mul_f32_e32 v103, 0x3f0a6770, v67
	v_fma_f32 v102, 0xbf75a155, v56, -v99
	v_mul_f32_e32 v106, 0xbf4178ce, v68
	v_add_f32_e32 v91, v29, v91
	v_mul_f32_e32 v89, 0xbf4178ce, v59
	v_fma_f32 v105, 0x3f575c64, v57, -v103
	v_add_f32_e32 v102, v28, v102
	v_fma_f32 v86, 0xbf75a155, v72, -v86
	v_add_f32_e32 v91, v95, v91
	v_fmamk_f32 v95, v75, 0xbf27a4f4, v96
	v_mul_f32_e32 v107, 0x3f68dda4, v69
	v_add_f32_e32 v102, v105, v102
	v_fma_f32 v105, 0xbf27a4f4, v60, -v106
	v_fmac_f32_e32 v99, 0xbf75a155, v56
	v_add_f32_e32 v91, v95, v91
	v_fmamk_f32 v95, v73, 0x3ed4b147, v100
	v_mul_f32_e32 v92, 0x3f7d64f0, v58
	v_add_f32_e32 v86, v29, v86
	v_fma_f32 v109, 0x3f575c64, v74, -v87
	v_add_f32_e32 v102, v105, v102
	v_add_f32_e32 v91, v95, v91
	v_mul_f32_e32 v95, 0xbf7d64f0, v65
	v_fma_f32 v105, 0x3ed4b147, v62, -v107
	v_add_f32_e32 v99, v28, v99
	v_fmac_f32_e32 v103, 0x3f575c64, v57
	v_sub_f32_e32 v80, v80, v89
	v_fmamk_f32 v108, v71, 0xbe11bafb, v95
	v_mul_f32_e32 v94, 0xbf0a6770, v61
	v_add_f32_e32 v86, v109, v86
	v_add_f32_e32 v99, v103, v99
	v_fmac_f32_e32 v106, 0xbf27a4f4, v60
	v_add_f32_e32 v87, v108, v91
	v_fma_f32 v91, 0xbf27a4f4, v75, -v96
	v_add_f32_e32 v96, v105, v102
	v_mul_f32_e32 v102, 0xbf7d64f0, v70
	v_add_f32_e32 v80, v29, v80
	v_sub_f32_e32 v82, v82, v92
	v_mul_f32_e32 v88, 0xbf27a4f4, v56
	v_mul_f32_e32 v98, 0xbe903f40, v63
	v_add_f32_e32 v86, v91, v86
	v_fma_f32 v91, 0x3ed4b147, v73, -v100
	v_fma_f32 v89, 0xbe11bafb, v64, -v102
	;; [unrolled: 1-line block ×3, first 2 shown]
	v_add_f32_e32 v95, v106, v99
	v_fmac_f32_e32 v107, 0x3ed4b147, v62
	v_add_f32_e32 v80, v82, v80
	v_sub_f32_e32 v82, v83, v94
	v_mul_f32_e32 v90, 0xbe11bafb, v57
	v_add_f32_e32 v91, v91, v86
	v_add_f32_e32 v86, v89, v96
	;; [unrolled: 1-line block ×4, first 2 shown]
	v_fmac_f32_e32 v102, 0xbe11bafb, v64
	v_add_f32_e32 v80, v82, v80
	v_sub_f32_e32 v85, v85, v98
	v_mul_f32_e32 v88, 0xbe11bafb, v72
	v_mul_f32_e32 v93, 0x3f575c64, v60
	;; [unrolled: 1-line block ×3, first 2 shown]
	v_add_f32_e32 v77, v28, v77
	v_add_f32_e32 v76, v90, v76
	;; [unrolled: 1-line block ×4, first 2 shown]
	v_fmamk_f32 v85, v59, 0x3f7d64f0, v88
	v_mul_f32_e32 v89, 0xbf75a155, v74
	v_mul_f32_e32 v97, 0xbf75a155, v62
	v_add_f32_e32 v76, v76, v77
	v_add_f32_e32 v77, v93, v78
	v_sub_f32_e32 v78, v84, v104
	v_add_f32_e32 v84, v29, v85
	v_fmamk_f32 v85, v58, 0xbe903f40, v89
	v_mul_f32_e32 v90, 0x3ed4b147, v75
	v_mul_f32_e32 v101, 0x3ed4b147, v64
	v_add_f32_e32 v76, v77, v76
	v_add_f32_e32 v79, v97, v79
	;; [unrolled: 1-line block ×4, first 2 shown]
	v_fmamk_f32 v80, v61, 0xbf68dda4, v90
	v_mul_f32_e32 v84, 0x3f575c64, v73
	v_add_f32_e32 v83, v92, v91
	v_add_f32_e32 v76, v79, v76
	;; [unrolled: 1-line block ×3, first 2 shown]
	v_mul_f32_e32 v85, 0xbf7d64f0, v66
	v_add_f32_e32 v78, v80, v78
	v_fmamk_f32 v80, v63, 0x3f0a6770, v84
	v_mul_f32_e32 v91, 0xbf27a4f4, v71
	v_add_f32_e32 v76, v79, v76
	v_fmamk_f32 v79, v56, 0xbe11bafb, v85
	;; [unrolled: 3-line block ×11, first 2 shown]
	v_mul_f32_e32 v72, 0x3f575c64, v72
	v_add_f32_e32 v78, v81, v80
	v_mul_f32_e32 v74, 0x3ed4b147, v74
	v_mul_f32_e32 v75, 0xbe11bafb, v75
	v_add_f32_e32 v81, v102, v97
	v_fmamk_f32 v97, v65, 0xbf0a6770, v103
	v_add_f32_e32 v31, v31, v29
	v_fmamk_f32 v107, v58, 0x3f68dda4, v74
	v_mul_f32_e32 v73, 0xbf27a4f4, v73
	v_add_f32_e32 v30, v30, v28
	v_add_f32_e32 v81, v97, v81
	v_fmamk_f32 v97, v59, 0x3f0a6770, v72
	v_add_f32_e32 v31, v43, v31
	v_mul_f32_e32 v101, 0xbf68dda4, v66
	v_fmamk_f32 v43, v63, 0x3f4178ce, v73
	v_mul_f32_e32 v66, 0xbf0a6770, v66
	v_add_f32_e32 v97, v29, v97
	v_add_f32_e32 v31, v45, v31
	;; [unrolled: 1-line block ×3, first 2 shown]
	v_mul_f32_e32 v45, 0xbf68dda4, v67
	v_fmac_f32_e32 v88, 0xbf7d64f0, v59
	v_add_f32_e32 v97, v107, v97
	v_fmamk_f32 v107, v61, 0x3f7d64f0, v75
	v_add_f32_e32 v31, v39, v31
	v_add_f32_e32 v30, v44, v30
	v_fmamk_f32 v44, v57, 0x3ed4b147, v45
	v_fmac_f32_e32 v89, 0x3e903f40, v58
	v_add_f32_e32 v97, v107, v97
	v_add_f32_e32 v31, v41, v31
	;; [unrolled: 1-line block ×3, first 2 shown]
	v_mul_f32_e32 v38, 0xbf7d64f0, v68
	v_fmac_f32_e32 v90, 0x3f68dda4, v61
	v_add_f32_e32 v42, v43, v97
	v_fmamk_f32 v43, v56, 0x3f575c64, v66
	v_add_f32_e32 v35, v35, v31
	v_add_f32_e32 v30, v40, v30
	v_fmamk_f32 v40, v60, 0xbe11bafb, v38
	v_fmac_f32_e32 v93, 0xbf68dda4, v59
	v_add_f32_e32 v43, v28, v43
	v_add_f32_e32 v35, v37, v35
	;; [unrolled: 1-line block ×3, first 2 shown]
	v_fmac_f32_e32 v84, 0xbf0a6770, v63
	v_fmac_f32_e32 v96, 0xbf4178ce, v58
	v_add_f32_e32 v43, v44, v43
	v_mul_f32_e32 v44, 0xbf4178ce, v69
	v_add_f32_e32 v1, v1, v35
	v_add_f32_e32 v30, v36, v30
	v_fmac_f32_e32 v91, 0xbf4178ce, v65
	v_add_f32_e32 v34, v40, v43
	v_fmamk_f32 v37, v62, 0xbf27a4f4, v44
	v_mul_f32_e32 v40, 0xbe903f40, v70
	v_add_f32_e32 v1, v3, v1
	v_add_f32_e32 v0, v0, v30
	;; [unrolled: 1-line block ×4, first 2 shown]
	v_fmamk_f32 v35, v64, 0xbf75a155, v40
	v_fma_f32 v36, 0x3f575c64, v62, -v94
	v_add_f32_e32 v0, v2, v0
	v_add_f32_e32 v2, v89, v3
	v_fmac_f32_e32 v98, 0x3e903f40, v61
	v_add_f32_e32 v30, v35, v34
	v_fma_f32 v34, 0xbe11bafb, v56, -v85
	v_add_f32_e32 v35, v29, v93
	v_add_f32_e32 v2, v90, v2
	v_mul_f32_e32 v39, 0xbf75a155, v71
	v_fmac_f32_e32 v100, 0x3f7d64f0, v63
	v_add_f32_e32 v3, v28, v34
	v_fma_f32 v34, 0xbf75a155, v57, -v92
	v_add_f32_e32 v2, v84, v2
	v_add_f32_e32 v35, v96, v35
	v_fmamk_f32 v80, v56, 0x3ed4b147, v101
	v_mul_f32_e32 v104, 0xbf4178ce, v67
	v_add_f32_e32 v3, v34, v3
	v_fma_f32 v34, 0x3ed4b147, v60, -v95
	v_add_f32_e32 v35, v98, v35
	v_fmamk_f32 v41, v65, 0x3e903f40, v39
	v_fmac_f32_e32 v72, 0xbf0a6770, v59
	v_add_f32_e32 v80, v28, v80
	v_add_f32_e32 v34, v34, v3
	;; [unrolled: 1-line block ×3, first 2 shown]
	v_fma_f32 v2, 0x3ed4b147, v56, -v101
	v_fmamk_f32 v102, v57, 0xbf27a4f4, v104
	v_mul_f32_e32 v105, 0x3e903f40, v68
	v_add_f32_e32 v34, v36, v34
	v_fma_f32 v36, 0xbf27a4f4, v64, -v99
	v_add_f32_e32 v37, v28, v2
	v_add_f32_e32 v31, v41, v42
	v_fma_f32 v41, 0xbf27a4f4, v57, -v104
	v_add_f32_e32 v29, v29, v72
	v_add_f32_e32 v2, v36, v34
	;; [unrolled: 1-line block ×3, first 2 shown]
	v_fma_f32 v35, 0x3f575c64, v56, -v66
	v_fmac_f32_e32 v74, 0xbf68dda4, v58
	v_add_f32_e32 v80, v102, v80
	v_fmamk_f32 v102, v60, 0xbf75a155, v105
	v_mul_f32_e32 v106, 0x3f7d64f0, v69
	v_add_f32_e32 v28, v28, v35
	v_fma_f32 v35, 0x3ed4b147, v57, -v45
	v_add_f32_e32 v36, v41, v37
	v_fma_f32 v37, 0xbf75a155, v60, -v105
	v_add_f32_e32 v29, v74, v29
	v_fmac_f32_e32 v75, 0xbf7d64f0, v61
	v_add_f32_e32 v28, v35, v28
	v_fma_f32 v35, 0xbe11bafb, v60, -v38
	v_add_f32_e32 v80, v102, v80
	v_fmamk_f32 v102, v62, 0xbe11bafb, v106
	v_mul_f32_e32 v108, 0x3f0a6770, v70
	v_add_f32_e32 v36, v37, v36
	v_fma_f32 v37, 0xbe11bafb, v62, -v106
	v_add_f32_e32 v29, v75, v29
	v_fmac_f32_e32 v73, 0xbf4178ce, v63
	v_add_f32_e32 v28, v35, v28
	v_fma_f32 v35, 0xbf27a4f4, v62, -v44
	v_mov_b32_e32 v38, 3
	v_add_f32_e32 v80, v102, v80
	v_fmamk_f32 v102, v64, 0x3f575c64, v108
	v_fmac_f32_e32 v103, 0x3f0a6770, v65
	v_add_f32_e32 v36, v37, v36
	v_fma_f32 v37, 0x3f575c64, v64, -v108
	v_add_f32_e32 v1, v48, v1
	v_add_f32_e32 v0, v47, v0
	v_add_f32_e32 v41, v73, v29
	v_fmac_f32_e32 v39, 0xbe903f40, v65
	v_add_f32_e32 v42, v35, v28
	v_fma_f32 v40, 0xbf75a155, v64, -v40
	v_lshlrev_b32_sdwa v38, v38, v54 dst_sel:DWORD dst_unused:UNUSED_PAD src0_sel:DWORD src1_sel:WORD_0
	v_add_f32_e32 v80, v102, v80
	v_add_f32_e32 v29, v103, v34
	;; [unrolled: 1-line block ×5, first 2 shown]
	ds_write2_b64 v38, v[0:1], v[30:31] offset1:1
	ds_write2_b64 v38, v[80:81], v[78:79] offset0:2 offset1:3
	ds_write2_b64 v38, v[76:77], v[82:83] offset0:4 offset1:5
	;; [unrolled: 1-line block ×4, first 2 shown]
	ds_write_b64 v38, v[34:35] offset:80
.LBB0_17:
	s_or_b32 exec_lo, exec_lo, s1
	s_waitcnt lgkmcnt(0)
	s_barrier
	buffer_gl0_inv
	ds_read2_b64 v[0:3], v51 offset1:88
	v_add_nc_u32_e32 v31, 0x400, v51
	v_add_nc_u32_e32 v28, 0x800, v51
	ds_read_b64 v[29:30], v51 offset:4224
	ds_read2_b64 v[34:37], v31 offset0:48 offset1:136
	ds_read2_b64 v[38:41], v28 offset0:96 offset1:184
	s_waitcnt lgkmcnt(0)
	s_barrier
	buffer_gl0_inv
	v_mul_f32_e32 v31, v13, v3
	v_mul_f32_e32 v13, v13, v2
	;; [unrolled: 1-line block ×4, first 2 shown]
	v_fmac_f32_e32 v31, v12, v2
	v_fma_f32 v2, v12, v3, -v13
	v_mul_f32_e32 v3, v15, v35
	v_mul_f32_e32 v12, v15, v34
	;; [unrolled: 1-line block ×8, first 2 shown]
	v_fmac_f32_e32 v42, v6, v29
	v_fma_f32 v6, v6, v30, -v7
	v_fmac_f32_e32 v3, v14, v34
	v_fma_f32 v7, v14, v35, -v12
	;; [unrolled: 2-line block ×5, first 2 shown]
	v_add_f32_e32 v5, v31, v42
	v_add_f32_e32 v10, v2, v6
	v_sub_f32_e32 v2, v2, v6
	v_add_f32_e32 v6, v3, v43
	v_add_f32_e32 v12, v7, v4
	v_sub_f32_e32 v11, v31, v42
	v_sub_f32_e32 v3, v3, v43
	;; [unrolled: 1-line block ×3, first 2 shown]
	v_add_f32_e32 v7, v13, v15
	v_add_f32_e32 v14, v8, v9
	v_sub_f32_e32 v13, v15, v13
	v_sub_f32_e32 v8, v9, v8
	v_add_f32_e32 v9, v6, v5
	v_add_f32_e32 v15, v12, v10
	v_sub_f32_e32 v29, v6, v5
	v_sub_f32_e32 v30, v12, v10
	;; [unrolled: 1-line block ×6, first 2 shown]
	v_add_f32_e32 v31, v13, v3
	v_add_f32_e32 v34, v8, v4
	v_sub_f32_e32 v35, v13, v3
	v_sub_f32_e32 v36, v8, v4
	;; [unrolled: 1-line block ×3, first 2 shown]
	v_add_f32_e32 v7, v7, v9
	v_add_f32_e32 v9, v14, v15
	v_sub_f32_e32 v4, v4, v2
	v_sub_f32_e32 v13, v11, v13
	;; [unrolled: 1-line block ×3, first 2 shown]
	v_add_f32_e32 v11, v31, v11
	v_add_f32_e32 v2, v34, v2
	;; [unrolled: 1-line block ×4, first 2 shown]
	v_mul_f32_e32 v5, 0x3f4a47b2, v5
	v_mul_f32_e32 v10, 0x3f4a47b2, v10
	;; [unrolled: 1-line block ×8, first 2 shown]
	v_fmamk_f32 v7, v7, 0xbf955555, v0
	v_fmamk_f32 v9, v9, 0xbf955555, v1
	v_fmamk_f32 v6, v6, 0x3d64c772, v5
	v_fmamk_f32 v12, v12, 0x3d64c772, v10
	v_fma_f32 v14, 0x3f3bfb3b, v29, -v14
	v_fma_f32 v15, 0x3f3bfb3b, v30, -v15
	;; [unrolled: 1-line block ×4, first 2 shown]
	v_fmamk_f32 v29, v13, 0xbeae86e6, v31
	v_fmamk_f32 v30, v8, 0xbeae86e6, v34
	v_fma_f32 v31, 0xbf5ff5aa, v3, -v31
	v_fma_f32 v34, 0xbf5ff5aa, v4, -v34
	;; [unrolled: 1-line block ×4, first 2 shown]
	v_add_f32_e32 v36, v6, v7
	v_add_f32_e32 v12, v12, v9
	;; [unrolled: 1-line block ×6, first 2 shown]
	v_fmac_f32_e32 v29, 0xbee1c552, v11
	v_fmac_f32_e32 v30, 0xbee1c552, v2
	;; [unrolled: 1-line block ×6, first 2 shown]
	v_add_f32_e32 v2, v30, v36
	v_sub_f32_e32 v3, v12, v29
	v_add_f32_e32 v4, v35, v15
	v_sub_f32_e32 v5, v37, v13
	v_sub_f32_e32 v6, v8, v34
	v_add_f32_e32 v7, v31, v14
	v_add_f32_e32 v8, v34, v8
	v_sub_f32_e32 v9, v14, v31
	v_sub_f32_e32 v10, v15, v35
	v_add_f32_e32 v11, v13, v37
	v_sub_f32_e32 v30, v36, v30
	v_add_f32_e32 v31, v29, v12
	ds_write2_b64 v55, v[0:1], v[2:3] offset1:11
	ds_write2_b64 v55, v[4:5], v[6:7] offset0:22 offset1:33
	ds_write2_b64 v55, v[8:9], v[10:11] offset0:44 offset1:55
	ds_write_b64 v55, v[30:31] offset:528
	s_waitcnt lgkmcnt(0)
	s_barrier
	buffer_gl0_inv
	s_and_saveexec_b32 s1, s0
	s_cbranch_execz .LBB0_19
; %bb.18:
	v_add_nc_u32_e32 v12, 0xc00, v51
	ds_read2_b64 v[0:3], v51 offset1:77
	ds_read2_b64 v[4:7], v51 offset0:154 offset1:231
	ds_read2_b64 v[8:11], v28 offset0:52 offset1:129
	ds_read2_b64 v[30:33], v12 offset0:78 offset1:155
.LBB0_19:
	s_or_b32 exec_lo, exec_lo, s1
	s_and_saveexec_b32 s1, s0
	s_cbranch_execz .LBB0_21
; %bb.20:
	s_waitcnt lgkmcnt(1)
	v_mul_f32_e32 v12, v19, v8
	v_mul_f32_e32 v13, v23, v5
	s_waitcnt lgkmcnt(0)
	v_mul_f32_e32 v14, v27, v31
	v_mul_f32_e32 v15, v21, v2
	;; [unrolled: 1-line block ×6, first 2 shown]
	v_fma_f32 v12, v18, v9, -v12
	v_fmac_f32_e32 v13, v22, v4
	v_fmac_f32_e32 v14, v26, v30
	v_fma_f32 v15, v20, v3, -v15
	v_fma_f32 v28, v24, v11, -v28
	v_mul_f32_e32 v35, v50, v32
	v_fmac_f32_e32 v29, v16, v6
	v_fmac_f32_e32 v34, v49, v32
	v_fma_f32 v6, v16, v7, -v17
	v_mul_f32_e32 v16, v21, v3
	v_mul_f32_e32 v3, v25, v11
	;; [unrolled: 1-line block ×5, first 2 shown]
	v_sub_f32_e32 v12, v1, v12
	v_sub_f32_e32 v14, v13, v14
	;; [unrolled: 1-line block ×3, first 2 shown]
	v_fma_f32 v7, v49, v33, -v35
	v_fmac_f32_e32 v16, v20, v2
	v_fmac_f32_e32 v3, v24, v10
	v_fma_f32 v4, v22, v5, -v4
	v_fma_f32 v2, v26, v31, -v11
	v_fmac_f32_e32 v9, v18, v8
	v_sub_f32_e32 v5, v29, v34
	v_sub_f32_e32 v7, v6, v7
	;; [unrolled: 1-line block ×7, first 2 shown]
	v_add_f32_e32 v18, v7, v8
	v_fma_f32 v20, v1, 2.0, -v12
	v_add_f32_e32 v19, v10, v9
	v_fma_f32 v1, v4, 2.0, -v10
	v_fmamk_f32 v3, v17, 0x3f3504f3, v11
	v_fma_f32 v10, v16, 2.0, -v8
	v_fma_f32 v16, v29, 2.0, -v5
	v_fmamk_f32 v2, v18, 0x3f3504f3, v19
	v_fma_f32 v0, v0, 2.0, -v9
	v_fmac_f32_e32 v3, 0xbf3504f3, v18
	v_fma_f32 v13, v13, 2.0, -v14
	v_fma_f32 v14, v15, 2.0, -v28
	;; [unrolled: 1-line block ×3, first 2 shown]
	v_fmac_f32_e32 v2, 0x3f3504f3, v17
	v_fma_f32 v5, v11, 2.0, -v3
	v_sub_f32_e32 v21, v20, v1
	v_sub_f32_e32 v16, v10, v16
	v_fma_f32 v12, v12, 2.0, -v11
	v_fma_f32 v11, v28, 2.0, -v17
	;; [unrolled: 1-line block ×4, first 2 shown]
	v_sub_f32_e32 v17, v14, v6
	v_sub_f32_e32 v18, v0, v13
	v_fma_f32 v4, v19, 2.0, -v2
	v_fmamk_f32 v7, v11, 0xbf3504f3, v12
	v_fmamk_f32 v6, v8, 0xbf3504f3, v15
	v_fma_f32 v19, v20, 2.0, -v21
	v_fma_f32 v13, v14, 2.0, -v17
	;; [unrolled: 1-line block ×4, first 2 shown]
	v_fmac_f32_e32 v7, 0xbf3504f3, v8
	v_fmac_f32_e32 v6, 0x3f3504f3, v11
	v_sub_f32_e32 v11, v19, v13
	v_sub_f32_e32 v1, v21, v16
	;; [unrolled: 1-line block ×3, first 2 shown]
	v_add_f32_e32 v0, v18, v17
	v_fma_f32 v13, v12, 2.0, -v7
	v_fma_f32 v12, v15, 2.0, -v6
	;; [unrolled: 1-line block ×6, first 2 shown]
	v_add_nc_u32_e32 v16, 0x800, v51
	v_add_nc_u32_e32 v17, 0xc00, v51
	ds_write2_b64 v51, v[14:15], v[12:13] offset1:77
	ds_write2_b64 v51, v[8:9], v[4:5] offset0:154 offset1:231
	ds_write2_b64 v16, v[10:11], v[6:7] offset0:52 offset1:129
	;; [unrolled: 1-line block ×3, first 2 shown]
.LBB0_21:
	s_or_b32 exec_lo, exec_lo, s1
	s_waitcnt lgkmcnt(0)
	s_barrier
	buffer_gl0_inv
	s_and_b32 exec_lo, exec_lo, vcc_lo
	s_cbranch_execz .LBB0_23
; %bb.22:
	v_lshlrev_b32_e32 v0, 3, v52
	v_add_co_u32 v2, s0, s14, v51
	v_add_co_ci_u32_e64 v3, null, s15, 0, s0
	s_clause 0x5
	global_load_dwordx2 v[20:21], v51, s[14:15]
	global_load_dwordx2 v[22:23], v51, s[14:15] offset:448
	global_load_dwordx2 v[24:25], v51, s[14:15] offset:896
	;; [unrolled: 1-line block ×4, first 2 shown]
	global_load_dwordx2 v[30:31], v0, s[14:15]
	v_add_co_u32 v0, vcc_lo, 0x800, v2
	v_add_co_ci_u32_e32 v1, vcc_lo, 0, v3, vcc_lo
	v_add_co_u32 v2, vcc_lo, 0x1000, v2
	v_add_co_ci_u32_e32 v3, vcc_lo, 0, v3, vcc_lo
	s_clause 0x4
	global_load_dwordx2 v[32:33], v[0:1], off offset:192
	global_load_dwordx2 v[34:35], v[0:1], off offset:640
	;; [unrolled: 1-line block ×5, first 2 shown]
	v_mad_u64_u32 v[0:1], null, s6, v46, 0
	v_mad_u64_u32 v[2:3], null, s4, v53, 0
	s_mul_i32 s0, s5, 0x1c0
	s_mul_hi_u32 s1, s4, 0x1c0
	s_mul_i32 s2, s4, 0x1c0
	s_add_i32 s3, s1, s0
	v_mad_u64_u32 v[57:58], null, s4, v52, 0
	v_mad_u64_u32 v[4:5], null, s7, v46, v[1:2]
	v_add_nc_u32_e32 v12, 0x800, v51
	v_add_nc_u32_e32 v16, 0xc00, v51
	s_mov_b32 s0, 0x606a63be
	s_mov_b32 s1, 0x3f5a98ef
	v_mov_b32_e32 v8, v58
	v_mad_u64_u32 v[5:6], null, s5, v53, v[3:4]
	v_mov_b32_e32 v1, v4
	ds_read_b64 v[53:54], v51
	v_mad_u64_u32 v[8:9], null, s5, v52, v[8:9]
	v_lshlrev_b64 v[0:1], 3, v[0:1]
	v_mov_b32_e32 v3, v5
	ds_read2_b64 v[4:7], v51 offset0:168 offset1:224
	v_mov_b32_e32 v58, v8
	v_lshlrev_b64 v[2:3], 3, v[2:3]
	v_add_co_u32 v67, vcc_lo, s12, v0
	v_add_co_ci_u32_e32 v68, vcc_lo, s13, v1, vcc_lo
	ds_read2_b64 v[8:11], v12 offset0:24 offset1:80
	v_add_co_u32 v42, vcc_lo, v67, v2
	v_add_co_ci_u32_e32 v43, vcc_lo, v68, v3, vcc_lo
	ds_read2_b64 v[0:3], v51 offset0:56 offset1:112
	;; [unrolled: 3-line block ×3, first 2 shown]
	ds_read2_b64 v[16:19], v16 offset0:120 offset1:176
	v_add_co_u32 v46, vcc_lo, v44, s2
	v_add_co_ci_u32_e32 v47, vcc_lo, s3, v45, vcc_lo
	v_lshlrev_b64 v[51:52], 3, v[57:58]
	v_add_co_u32 v48, vcc_lo, v46, s2
	v_add_co_ci_u32_e32 v49, vcc_lo, s3, v47, vcc_lo
	v_add_co_u32 v55, vcc_lo, v48, s2
	v_add_co_ci_u32_e32 v56, vcc_lo, s3, v49, vcc_lo
	;; [unrolled: 2-line block ×5, first 2 shown]
	v_mad_u64_u32 v[65:66], null, 0x380, s4, v[63:64]
	v_mov_b32_e32 v50, v66
	v_mad_u64_u32 v[57:58], null, 0x380, s5, v[50:51]
	s_waitcnt vmcnt(10) lgkmcnt(5)
	v_mul_f32_e32 v50, v54, v21
	s_waitcnt vmcnt(9) lgkmcnt(2)
	v_mul_f32_e32 v58, v1, v23
	v_mul_f32_e32 v21, v53, v21
	;; [unrolled: 1-line block ×3, first 2 shown]
	s_waitcnt vmcnt(8)
	v_mul_f32_e32 v66, v3, v25
	s_waitcnt vmcnt(7)
	v_mul_f32_e32 v69, v5, v27
	v_fmac_f32_e32 v50, v53, v20
	v_mul_f32_e32 v27, v4, v27
	v_fmac_f32_e32 v58, v0, v22
	v_mul_f32_e32 v25, v2, v25
	s_waitcnt vmcnt(6)
	v_mul_f32_e32 v70, v7, v29
	v_mul_f32_e32 v29, v6, v29
	v_fma_f32 v20, v20, v54, -v21
	v_fma_f32 v21, v22, v1, -v23
	v_fmac_f32_e32 v66, v2, v24
	v_fmac_f32_e32 v69, v4, v26
	s_waitcnt vmcnt(5) lgkmcnt(1)
	v_mul_f32_e32 v71, v15, v31
	v_mul_f32_e32 v31, v14, v31
	v_cvt_f64_f32_e32 v[0:1], v50
	s_waitcnt vmcnt(4)
	v_mul_f32_e32 v50, v9, v33
	v_mul_f32_e32 v33, v8, v33
	v_fma_f32 v26, v26, v5, -v27
	v_cvt_f64_f32_e32 v[4:5], v58
	s_waitcnt vmcnt(3)
	v_mul_f32_e32 v58, v11, v35
	v_mul_f32_e32 v35, v10, v35
	v_fma_f32 v22, v24, v3, -v25
	v_fmac_f32_e32 v70, v6, v28
	v_fma_f32 v53, v28, v7, -v29
	v_cvt_f64_f32_e32 v[2:3], v20
	v_cvt_f64_f32_e32 v[6:7], v21
	;; [unrolled: 1-line block ×3, first 2 shown]
	s_waitcnt vmcnt(2)
	v_mul_f32_e32 v66, v13, v37
	v_mul_f32_e32 v37, v12, v37
	v_cvt_f64_f32_e32 v[24:25], v69
	v_fmac_f32_e32 v71, v14, v30
	v_fma_f32 v14, v30, v15, -v31
	s_waitcnt vmcnt(1) lgkmcnt(0)
	v_mul_f32_e32 v69, v17, v39
	v_mul_f32_e32 v15, v16, v39
	s_waitcnt vmcnt(0)
	v_mul_f32_e32 v39, v19, v41
	v_mul_f32_e32 v30, v18, v41
	v_fmac_f32_e32 v50, v8, v32
	v_fma_f32 v31, v32, v9, -v33
	v_fmac_f32_e32 v58, v10, v34
	v_fma_f32 v32, v34, v11, -v35
	v_cvt_f64_f32_e32 v[22:23], v22
	v_fmac_f32_e32 v66, v12, v36
	v_fma_f32 v33, v36, v13, -v37
	v_cvt_f64_f32_e32 v[26:27], v26
	v_cvt_f64_f32_e32 v[28:29], v70
	;; [unrolled: 1-line block ×3, first 2 shown]
	v_fmac_f32_e32 v69, v16, v38
	v_fma_f32 v36, v38, v17, -v15
	v_cvt_f64_f32_e32 v[8:9], v71
	v_cvt_f64_f32_e32 v[10:11], v14
	v_fmac_f32_e32 v39, v18, v40
	v_fma_f32 v40, v40, v19, -v30
	v_cvt_f64_f32_e32 v[12:13], v50
	v_cvt_f64_f32_e32 v[14:15], v31
	;; [unrolled: 1-line block ×10, first 2 shown]
	v_mul_f64 v[0:1], v[0:1], s[0:1]
	v_mul_f64 v[2:3], v[2:3], s[0:1]
	;; [unrolled: 1-line block ×22, first 2 shown]
	v_cvt_f32_f64_e32 v0, v[0:1]
	v_cvt_f32_f64_e32 v1, v[2:3]
	;; [unrolled: 1-line block ×22, first 2 shown]
	v_mov_b32_e32 v66, v57
	v_add_co_u32 v22, vcc_lo, v67, v51
	v_add_co_ci_u32_e32 v23, vcc_lo, v68, v52, vcc_lo
	v_add_co_u32 v24, vcc_lo, v65, s2
	v_add_co_ci_u32_e32 v25, vcc_lo, s3, v66, vcc_lo
	global_store_dwordx2 v[42:43], v[0:1], off
	global_store_dwordx2 v[44:45], v[2:3], off
	;; [unrolled: 1-line block ×11, first 2 shown]
.LBB0_23:
	s_endpgm
	.section	.rodata,"a",@progbits
	.p2align	6, 0x0
	.amdhsa_kernel bluestein_single_back_len616_dim1_sp_op_CI_CI
		.amdhsa_group_segment_fixed_size 4928
		.amdhsa_private_segment_fixed_size 0
		.amdhsa_kernarg_size 104
		.amdhsa_user_sgpr_count 6
		.amdhsa_user_sgpr_private_segment_buffer 1
		.amdhsa_user_sgpr_dispatch_ptr 0
		.amdhsa_user_sgpr_queue_ptr 0
		.amdhsa_user_sgpr_kernarg_segment_ptr 1
		.amdhsa_user_sgpr_dispatch_id 0
		.amdhsa_user_sgpr_flat_scratch_init 0
		.amdhsa_user_sgpr_private_segment_size 0
		.amdhsa_wavefront_size32 1
		.amdhsa_uses_dynamic_stack 0
		.amdhsa_system_sgpr_private_segment_wavefront_offset 0
		.amdhsa_system_sgpr_workgroup_id_x 1
		.amdhsa_system_sgpr_workgroup_id_y 0
		.amdhsa_system_sgpr_workgroup_id_z 0
		.amdhsa_system_sgpr_workgroup_info 0
		.amdhsa_system_vgpr_workitem_id 0
		.amdhsa_next_free_vgpr 112
		.amdhsa_next_free_sgpr 16
		.amdhsa_reserve_vcc 1
		.amdhsa_reserve_flat_scratch 0
		.amdhsa_float_round_mode_32 0
		.amdhsa_float_round_mode_16_64 0
		.amdhsa_float_denorm_mode_32 3
		.amdhsa_float_denorm_mode_16_64 3
		.amdhsa_dx10_clamp 1
		.amdhsa_ieee_mode 1
		.amdhsa_fp16_overflow 0
		.amdhsa_workgroup_processor_mode 1
		.amdhsa_memory_ordered 1
		.amdhsa_forward_progress 0
		.amdhsa_shared_vgpr_count 0
		.amdhsa_exception_fp_ieee_invalid_op 0
		.amdhsa_exception_fp_denorm_src 0
		.amdhsa_exception_fp_ieee_div_zero 0
		.amdhsa_exception_fp_ieee_overflow 0
		.amdhsa_exception_fp_ieee_underflow 0
		.amdhsa_exception_fp_ieee_inexact 0
		.amdhsa_exception_int_div_zero 0
	.end_amdhsa_kernel
	.text
.Lfunc_end0:
	.size	bluestein_single_back_len616_dim1_sp_op_CI_CI, .Lfunc_end0-bluestein_single_back_len616_dim1_sp_op_CI_CI
                                        ; -- End function
	.section	.AMDGPU.csdata,"",@progbits
; Kernel info:
; codeLenInByte = 10068
; NumSgprs: 18
; NumVgprs: 112
; ScratchSize: 0
; MemoryBound: 0
; FloatMode: 240
; IeeeMode: 1
; LDSByteSize: 4928 bytes/workgroup (compile time only)
; SGPRBlocks: 2
; VGPRBlocks: 13
; NumSGPRsForWavesPerEU: 18
; NumVGPRsForWavesPerEU: 112
; Occupancy: 9
; WaveLimiterHint : 1
; COMPUTE_PGM_RSRC2:SCRATCH_EN: 0
; COMPUTE_PGM_RSRC2:USER_SGPR: 6
; COMPUTE_PGM_RSRC2:TRAP_HANDLER: 0
; COMPUTE_PGM_RSRC2:TGID_X_EN: 1
; COMPUTE_PGM_RSRC2:TGID_Y_EN: 0
; COMPUTE_PGM_RSRC2:TGID_Z_EN: 0
; COMPUTE_PGM_RSRC2:TIDIG_COMP_CNT: 0
	.text
	.p2alignl 6, 3214868480
	.fill 48, 4, 3214868480
	.type	__hip_cuid_bd9e9f762ae80c74,@object ; @__hip_cuid_bd9e9f762ae80c74
	.section	.bss,"aw",@nobits
	.globl	__hip_cuid_bd9e9f762ae80c74
__hip_cuid_bd9e9f762ae80c74:
	.byte	0                               ; 0x0
	.size	__hip_cuid_bd9e9f762ae80c74, 1

	.ident	"AMD clang version 19.0.0git (https://github.com/RadeonOpenCompute/llvm-project roc-6.4.0 25133 c7fe45cf4b819c5991fe208aaa96edf142730f1d)"
	.section	".note.GNU-stack","",@progbits
	.addrsig
	.addrsig_sym __hip_cuid_bd9e9f762ae80c74
	.amdgpu_metadata
---
amdhsa.kernels:
  - .args:
      - .actual_access:  read_only
        .address_space:  global
        .offset:         0
        .size:           8
        .value_kind:     global_buffer
      - .actual_access:  read_only
        .address_space:  global
        .offset:         8
        .size:           8
        .value_kind:     global_buffer
      - .actual_access:  read_only
        .address_space:  global
        .offset:         16
        .size:           8
        .value_kind:     global_buffer
      - .actual_access:  read_only
        .address_space:  global
        .offset:         24
        .size:           8
        .value_kind:     global_buffer
      - .actual_access:  read_only
        .address_space:  global
        .offset:         32
        .size:           8
        .value_kind:     global_buffer
      - .offset:         40
        .size:           8
        .value_kind:     by_value
      - .address_space:  global
        .offset:         48
        .size:           8
        .value_kind:     global_buffer
      - .address_space:  global
        .offset:         56
        .size:           8
        .value_kind:     global_buffer
      - .address_space:  global
        .offset:         64
        .size:           8
        .value_kind:     global_buffer
      - .address_space:  global
        .offset:         72
        .size:           8
        .value_kind:     global_buffer
      - .offset:         80
        .size:           4
        .value_kind:     by_value
      - .address_space:  global
        .offset:         88
        .size:           8
        .value_kind:     global_buffer
      - .address_space:  global
        .offset:         96
        .size:           8
        .value_kind:     global_buffer
    .group_segment_fixed_size: 4928
    .kernarg_segment_align: 8
    .kernarg_segment_size: 104
    .language:       OpenCL C
    .language_version:
      - 2
      - 0
    .max_flat_workgroup_size: 88
    .name:           bluestein_single_back_len616_dim1_sp_op_CI_CI
    .private_segment_fixed_size: 0
    .sgpr_count:     18
    .sgpr_spill_count: 0
    .symbol:         bluestein_single_back_len616_dim1_sp_op_CI_CI.kd
    .uniform_work_group_size: 1
    .uses_dynamic_stack: false
    .vgpr_count:     112
    .vgpr_spill_count: 0
    .wavefront_size: 32
    .workgroup_processor_mode: 1
amdhsa.target:   amdgcn-amd-amdhsa--gfx1030
amdhsa.version:
  - 1
  - 2
...

	.end_amdgpu_metadata
